;; amdgpu-corpus repo=ROCm/rocFFT kind=compiled arch=gfx1201 opt=O3
	.text
	.amdgcn_target "amdgcn-amd-amdhsa--gfx1201"
	.amdhsa_code_object_version 6
	.protected	fft_rtc_back_len176_factors_11_16_wgs_64_tpt_16_halfLds_dp_ip_CI_unitstride_sbrr_C2R_dirReg ; -- Begin function fft_rtc_back_len176_factors_11_16_wgs_64_tpt_16_halfLds_dp_ip_CI_unitstride_sbrr_C2R_dirReg
	.globl	fft_rtc_back_len176_factors_11_16_wgs_64_tpt_16_halfLds_dp_ip_CI_unitstride_sbrr_C2R_dirReg
	.p2align	8
	.type	fft_rtc_back_len176_factors_11_16_wgs_64_tpt_16_halfLds_dp_ip_CI_unitstride_sbrr_C2R_dirReg,@function
fft_rtc_back_len176_factors_11_16_wgs_64_tpt_16_halfLds_dp_ip_CI_unitstride_sbrr_C2R_dirReg: ; @fft_rtc_back_len176_factors_11_16_wgs_64_tpt_16_halfLds_dp_ip_CI_unitstride_sbrr_C2R_dirReg
; %bb.0:
	s_clause 0x2
	s_load_b128 s[4:7], s[0:1], 0x0
	s_load_b64 s[8:9], s[0:1], 0x50
	s_load_b64 s[10:11], s[0:1], 0x18
	v_lshrrev_b32_e32 v9, 4, v0
	v_mov_b32_e32 v3, 0
	v_mov_b32_e32 v1, 0
	;; [unrolled: 1-line block ×3, first 2 shown]
	s_delay_alu instid0(VALU_DEP_4) | instskip(NEXT) | instid1(VALU_DEP_4)
	v_lshl_or_b32 v5, ttmp9, 2, v9
	v_mov_b32_e32 v6, v3
	s_wait_kmcnt 0x0
	v_cmp_lt_u64_e64 s2, s[6:7], 2
	s_delay_alu instid0(VALU_DEP_1)
	s_and_b32 vcc_lo, exec_lo, s2
	s_cbranch_vccnz .LBB0_8
; %bb.1:
	s_load_b64 s[2:3], s[0:1], 0x10
	v_mov_b32_e32 v1, 0
	v_mov_b32_e32 v2, 0
	s_add_nc_u64 s[12:13], s[10:11], 8
	s_mov_b64 s[14:15], 1
	s_wait_kmcnt 0x0
	s_add_nc_u64 s[16:17], s[2:3], 8
	s_mov_b32 s3, 0
.LBB0_2:                                ; =>This Inner Loop Header: Depth=1
	s_load_b64 s[18:19], s[16:17], 0x0
                                        ; implicit-def: $vgpr7_vgpr8
	s_mov_b32 s2, exec_lo
	s_wait_kmcnt 0x0
	v_or_b32_e32 v4, s19, v6
	s_delay_alu instid0(VALU_DEP_1)
	v_cmpx_ne_u64_e32 0, v[3:4]
	s_wait_alu 0xfffe
	s_xor_b32 s20, exec_lo, s2
	s_cbranch_execz .LBB0_4
; %bb.3:                                ;   in Loop: Header=BB0_2 Depth=1
	s_cvt_f32_u32 s2, s18
	s_cvt_f32_u32 s21, s19
	s_sub_nc_u64 s[24:25], 0, s[18:19]
	s_wait_alu 0xfffe
	s_delay_alu instid0(SALU_CYCLE_1) | instskip(SKIP_1) | instid1(SALU_CYCLE_2)
	s_fmamk_f32 s2, s21, 0x4f800000, s2
	s_wait_alu 0xfffe
	v_s_rcp_f32 s2, s2
	s_delay_alu instid0(TRANS32_DEP_1) | instskip(SKIP_1) | instid1(SALU_CYCLE_2)
	s_mul_f32 s2, s2, 0x5f7ffffc
	s_wait_alu 0xfffe
	s_mul_f32 s21, s2, 0x2f800000
	s_wait_alu 0xfffe
	s_delay_alu instid0(SALU_CYCLE_2) | instskip(SKIP_1) | instid1(SALU_CYCLE_2)
	s_trunc_f32 s21, s21
	s_wait_alu 0xfffe
	s_fmamk_f32 s2, s21, 0xcf800000, s2
	s_cvt_u32_f32 s23, s21
	s_wait_alu 0xfffe
	s_delay_alu instid0(SALU_CYCLE_1) | instskip(SKIP_1) | instid1(SALU_CYCLE_2)
	s_cvt_u32_f32 s22, s2
	s_wait_alu 0xfffe
	s_mul_u64 s[26:27], s[24:25], s[22:23]
	s_wait_alu 0xfffe
	s_mul_hi_u32 s29, s22, s27
	s_mul_i32 s28, s22, s27
	s_mul_hi_u32 s2, s22, s26
	s_mul_i32 s30, s23, s26
	s_wait_alu 0xfffe
	s_add_nc_u64 s[28:29], s[2:3], s[28:29]
	s_mul_hi_u32 s21, s23, s26
	s_mul_hi_u32 s31, s23, s27
	s_add_co_u32 s2, s28, s30
	s_wait_alu 0xfffe
	s_add_co_ci_u32 s2, s29, s21
	s_mul_i32 s26, s23, s27
	s_add_co_ci_u32 s27, s31, 0
	s_wait_alu 0xfffe
	s_add_nc_u64 s[26:27], s[2:3], s[26:27]
	s_wait_alu 0xfffe
	v_add_co_u32 v4, s2, s22, s26
	s_delay_alu instid0(VALU_DEP_1) | instskip(SKIP_1) | instid1(VALU_DEP_1)
	s_cmp_lg_u32 s2, 0
	s_add_co_ci_u32 s23, s23, s27
	v_readfirstlane_b32 s22, v4
	s_wait_alu 0xfffe
	s_delay_alu instid0(VALU_DEP_1)
	s_mul_u64 s[24:25], s[24:25], s[22:23]
	s_wait_alu 0xfffe
	s_mul_hi_u32 s27, s22, s25
	s_mul_i32 s26, s22, s25
	s_mul_hi_u32 s2, s22, s24
	s_mul_i32 s28, s23, s24
	s_wait_alu 0xfffe
	s_add_nc_u64 s[26:27], s[2:3], s[26:27]
	s_mul_hi_u32 s21, s23, s24
	s_mul_hi_u32 s22, s23, s25
	s_wait_alu 0xfffe
	s_add_co_u32 s2, s26, s28
	s_add_co_ci_u32 s2, s27, s21
	s_mul_i32 s24, s23, s25
	s_add_co_ci_u32 s25, s22, 0
	s_wait_alu 0xfffe
	s_add_nc_u64 s[24:25], s[2:3], s[24:25]
	s_wait_alu 0xfffe
	v_add_co_u32 v4, s2, v4, s24
	s_delay_alu instid0(VALU_DEP_1) | instskip(SKIP_1) | instid1(VALU_DEP_1)
	s_cmp_lg_u32 s2, 0
	s_add_co_ci_u32 s2, s23, s25
	v_mul_hi_u32 v14, v5, v4
	s_wait_alu 0xfffe
	v_mad_co_u64_u32 v[7:8], null, v5, s2, 0
	v_mad_co_u64_u32 v[10:11], null, v6, v4, 0
	;; [unrolled: 1-line block ×3, first 2 shown]
	s_delay_alu instid0(VALU_DEP_3) | instskip(SKIP_1) | instid1(VALU_DEP_4)
	v_add_co_u32 v4, vcc_lo, v14, v7
	s_wait_alu 0xfffd
	v_add_co_ci_u32_e32 v7, vcc_lo, 0, v8, vcc_lo
	s_delay_alu instid0(VALU_DEP_2) | instskip(SKIP_1) | instid1(VALU_DEP_2)
	v_add_co_u32 v4, vcc_lo, v4, v10
	s_wait_alu 0xfffd
	v_add_co_ci_u32_e32 v4, vcc_lo, v7, v11, vcc_lo
	s_wait_alu 0xfffd
	v_add_co_ci_u32_e32 v7, vcc_lo, 0, v13, vcc_lo
	s_delay_alu instid0(VALU_DEP_2) | instskip(SKIP_1) | instid1(VALU_DEP_2)
	v_add_co_u32 v4, vcc_lo, v4, v12
	s_wait_alu 0xfffd
	v_add_co_ci_u32_e32 v10, vcc_lo, 0, v7, vcc_lo
	s_delay_alu instid0(VALU_DEP_2) | instskip(SKIP_1) | instid1(VALU_DEP_3)
	v_mul_lo_u32 v11, s19, v4
	v_mad_co_u64_u32 v[7:8], null, s18, v4, 0
	v_mul_lo_u32 v12, s18, v10
	s_delay_alu instid0(VALU_DEP_2) | instskip(NEXT) | instid1(VALU_DEP_2)
	v_sub_co_u32 v7, vcc_lo, v5, v7
	v_add3_u32 v8, v8, v12, v11
	s_delay_alu instid0(VALU_DEP_1) | instskip(SKIP_1) | instid1(VALU_DEP_1)
	v_sub_nc_u32_e32 v11, v6, v8
	s_wait_alu 0xfffd
	v_subrev_co_ci_u32_e64 v11, s2, s19, v11, vcc_lo
	v_add_co_u32 v12, s2, v4, 2
	s_wait_alu 0xf1ff
	v_add_co_ci_u32_e64 v13, s2, 0, v10, s2
	v_sub_co_u32 v14, s2, v7, s18
	v_sub_co_ci_u32_e32 v8, vcc_lo, v6, v8, vcc_lo
	s_wait_alu 0xf1ff
	v_subrev_co_ci_u32_e64 v11, s2, 0, v11, s2
	s_delay_alu instid0(VALU_DEP_3) | instskip(NEXT) | instid1(VALU_DEP_3)
	v_cmp_le_u32_e32 vcc_lo, s18, v14
	v_cmp_eq_u32_e64 s2, s19, v8
	s_wait_alu 0xfffd
	v_cndmask_b32_e64 v14, 0, -1, vcc_lo
	v_cmp_le_u32_e32 vcc_lo, s19, v11
	s_wait_alu 0xfffd
	v_cndmask_b32_e64 v15, 0, -1, vcc_lo
	v_cmp_le_u32_e32 vcc_lo, s18, v7
	;; [unrolled: 3-line block ×3, first 2 shown]
	s_wait_alu 0xfffd
	v_cndmask_b32_e64 v16, 0, -1, vcc_lo
	v_cmp_eq_u32_e32 vcc_lo, s19, v11
	s_wait_alu 0xf1ff
	s_delay_alu instid0(VALU_DEP_2)
	v_cndmask_b32_e64 v7, v16, v7, s2
	s_wait_alu 0xfffd
	v_cndmask_b32_e32 v11, v15, v14, vcc_lo
	v_add_co_u32 v14, vcc_lo, v4, 1
	s_wait_alu 0xfffd
	v_add_co_ci_u32_e32 v15, vcc_lo, 0, v10, vcc_lo
	s_delay_alu instid0(VALU_DEP_3) | instskip(SKIP_1) | instid1(VALU_DEP_2)
	v_cmp_ne_u32_e32 vcc_lo, 0, v11
	s_wait_alu 0xfffd
	v_dual_cndmask_b32 v8, v15, v13 :: v_dual_cndmask_b32 v11, v14, v12
	v_cmp_ne_u32_e32 vcc_lo, 0, v7
	s_wait_alu 0xfffd
	s_delay_alu instid0(VALU_DEP_2)
	v_dual_cndmask_b32 v8, v10, v8 :: v_dual_cndmask_b32 v7, v4, v11
.LBB0_4:                                ;   in Loop: Header=BB0_2 Depth=1
	s_wait_alu 0xfffe
	s_and_not1_saveexec_b32 s2, s20
	s_cbranch_execz .LBB0_6
; %bb.5:                                ;   in Loop: Header=BB0_2 Depth=1
	v_cvt_f32_u32_e32 v4, s18
	s_sub_co_i32 s20, 0, s18
	s_delay_alu instid0(VALU_DEP_1) | instskip(NEXT) | instid1(TRANS32_DEP_1)
	v_rcp_iflag_f32_e32 v4, v4
	v_mul_f32_e32 v4, 0x4f7ffffe, v4
	s_delay_alu instid0(VALU_DEP_1) | instskip(SKIP_1) | instid1(VALU_DEP_1)
	v_cvt_u32_f32_e32 v4, v4
	s_wait_alu 0xfffe
	v_mul_lo_u32 v7, s20, v4
	s_delay_alu instid0(VALU_DEP_1) | instskip(NEXT) | instid1(VALU_DEP_1)
	v_mul_hi_u32 v7, v4, v7
	v_add_nc_u32_e32 v4, v4, v7
	s_delay_alu instid0(VALU_DEP_1) | instskip(NEXT) | instid1(VALU_DEP_1)
	v_mul_hi_u32 v4, v5, v4
	v_mul_lo_u32 v7, v4, s18
	v_add_nc_u32_e32 v8, 1, v4
	s_delay_alu instid0(VALU_DEP_2) | instskip(NEXT) | instid1(VALU_DEP_1)
	v_sub_nc_u32_e32 v7, v5, v7
	v_subrev_nc_u32_e32 v10, s18, v7
	v_cmp_le_u32_e32 vcc_lo, s18, v7
	s_wait_alu 0xfffd
	s_delay_alu instid0(VALU_DEP_2) | instskip(NEXT) | instid1(VALU_DEP_1)
	v_dual_cndmask_b32 v7, v7, v10 :: v_dual_cndmask_b32 v4, v4, v8
	v_cmp_le_u32_e32 vcc_lo, s18, v7
	s_delay_alu instid0(VALU_DEP_2) | instskip(SKIP_1) | instid1(VALU_DEP_1)
	v_add_nc_u32_e32 v8, 1, v4
	s_wait_alu 0xfffd
	v_dual_cndmask_b32 v7, v4, v8 :: v_dual_mov_b32 v8, v3
.LBB0_6:                                ;   in Loop: Header=BB0_2 Depth=1
	s_wait_alu 0xfffe
	s_or_b32 exec_lo, exec_lo, s2
	s_load_b64 s[20:21], s[12:13], 0x0
	s_delay_alu instid0(VALU_DEP_1)
	v_mul_lo_u32 v4, v8, s18
	v_mul_lo_u32 v12, v7, s19
	v_mad_co_u64_u32 v[10:11], null, v7, s18, 0
	s_add_nc_u64 s[14:15], s[14:15], 1
	s_add_nc_u64 s[12:13], s[12:13], 8
	s_wait_alu 0xfffe
	v_cmp_ge_u64_e64 s2, s[14:15], s[6:7]
	s_add_nc_u64 s[16:17], s[16:17], 8
	s_delay_alu instid0(VALU_DEP_2) | instskip(NEXT) | instid1(VALU_DEP_3)
	v_add3_u32 v4, v11, v12, v4
	v_sub_co_u32 v5, vcc_lo, v5, v10
	s_wait_alu 0xfffd
	s_delay_alu instid0(VALU_DEP_2) | instskip(SKIP_3) | instid1(VALU_DEP_2)
	v_sub_co_ci_u32_e32 v4, vcc_lo, v6, v4, vcc_lo
	s_and_b32 vcc_lo, exec_lo, s2
	s_wait_kmcnt 0x0
	v_mul_lo_u32 v6, s21, v5
	v_mul_lo_u32 v4, s20, v4
	v_mad_co_u64_u32 v[1:2], null, s20, v5, v[1:2]
	s_delay_alu instid0(VALU_DEP_1)
	v_add3_u32 v2, v6, v2, v4
	s_wait_alu 0xfffe
	s_cbranch_vccnz .LBB0_9
; %bb.7:                                ;   in Loop: Header=BB0_2 Depth=1
	v_dual_mov_b32 v5, v7 :: v_dual_mov_b32 v6, v8
	s_branch .LBB0_2
.LBB0_8:
	v_dual_mov_b32 v8, v6 :: v_dual_mov_b32 v7, v5
.LBB0_9:
	s_lshl_b64 s[2:3], s[6:7], 3
	v_and_b32_e32 v64, 15, v0
	s_wait_alu 0xfffe
	s_add_nc_u64 s[2:3], s[10:11], s[2:3]
	s_load_b64 s[2:3], s[2:3], 0x0
	s_load_b64 s[0:1], s[0:1], 0x20
	s_wait_kmcnt 0x0
	v_mul_lo_u32 v5, s2, v8
	v_mul_lo_u32 v6, s3, v7
	v_mad_co_u64_u32 v[3:4], null, s2, v7, v[1:2]
	v_mul_u32_u24_e32 v2, 0xb1, v9
	v_cmp_gt_u64_e32 vcc_lo, s[0:1], v[7:8]
	s_delay_alu instid0(VALU_DEP_2) | instskip(NEXT) | instid1(VALU_DEP_4)
	v_lshlrev_b32_e32 v10, 4, v2
	v_add3_u32 v4, v6, v4, v5
	s_delay_alu instid0(VALU_DEP_1)
	v_lshlrev_b64_e32 v[66:67], 4, v[3:4]
	s_and_saveexec_b32 s1, vcc_lo
	s_cbranch_execz .LBB0_13
; %bb.10:
	v_lshlrev_b32_e32 v3, 4, v64
	s_delay_alu instid0(VALU_DEP_2) | instskip(SKIP_3) | instid1(VALU_DEP_2)
	v_add_co_u32 v0, s0, s8, v66
	s_wait_alu 0xf1ff
	v_add_co_ci_u32_e64 v1, s0, s9, v67, s0
	s_mov_b32 s2, exec_lo
	v_add_co_u32 v8, s0, v0, v3
	s_wait_alu 0xf1ff
	s_delay_alu instid0(VALU_DEP_2)
	v_add_co_ci_u32_e64 v9, s0, 0, v1, s0
	v_add3_u32 v3, 0, v10, v3
	s_clause 0xa
	global_load_b128 v[4:7], v[8:9], off
	global_load_b128 v[11:14], v[8:9], off offset:256
	global_load_b128 v[15:18], v[8:9], off offset:512
	;; [unrolled: 1-line block ×10, first 2 shown]
	s_wait_loadcnt 0xa
	ds_store_b128 v3, v[4:7]
	s_wait_loadcnt 0x9
	ds_store_b128 v3, v[11:14] offset:256
	s_wait_loadcnt 0x8
	ds_store_b128 v3, v[15:18] offset:512
	;; [unrolled: 2-line block ×10, first 2 shown]
	v_cmpx_eq_u32_e32 15, v64
	s_cbranch_execz .LBB0_12
; %bb.11:
	global_load_b128 v[4:7], v[0:1], off offset:2816
	v_mov_b32_e32 v64, 15
	s_wait_loadcnt 0x0
	ds_store_b128 v3, v[4:7] offset:2576
.LBB0_12:
	s_wait_alu 0xfffe
	s_or_b32 exec_lo, exec_lo, s2
.LBB0_13:
	s_wait_alu 0xfffe
	s_or_b32 exec_lo, exec_lo, s1
	v_lshl_add_u32 v68, v2, 4, 0
	v_lshlrev_b32_e32 v11, 4, v64
	global_wb scope:SCOPE_SE
	s_wait_dscnt 0x0
	s_barrier_signal -1
	s_barrier_wait -1
	global_inv scope:SCOPE_SE
	v_add_nc_u32_e32 v69, v68, v11
	v_sub_nc_u32_e32 v12, v68, v11
	v_cmp_ne_u32_e64 s0, 0, v64
                                        ; implicit-def: $vgpr4_vgpr5
	ds_load_b64 v[6:7], v69
	ds_load_b64 v[8:9], v12 offset:2816
	s_wait_dscnt 0x0
	v_add_f64_e32 v[0:1], v[6:7], v[8:9]
	v_add_f64_e64 v[2:3], v[6:7], -v[8:9]
	s_and_saveexec_b32 s1, s0
	s_wait_alu 0xfffe
	s_xor_b32 s0, exec_lo, s1
	s_cbranch_execz .LBB0_15
; %bb.14:
	global_load_b128 v[2:5], v11, s[4:5] offset:2640
	ds_load_b64 v[0:1], v12 offset:2824
	ds_load_b64 v[13:14], v69 offset:8
	v_add_f64_e32 v[15:16], v[6:7], v[8:9]
	v_add_f64_e64 v[17:18], v[6:7], -v[8:9]
	v_mov_b32_e32 v65, 0
	s_wait_dscnt 0x0
	v_add_f64_e32 v[6:7], v[0:1], v[13:14]
	v_add_f64_e64 v[0:1], v[13:14], -v[0:1]
	s_wait_loadcnt 0x0
	s_delay_alu instid0(VALU_DEP_4) | instskip(SKIP_1) | instid1(VALU_DEP_3)
	v_fma_f64 v[8:9], v[17:18], v[4:5], v[15:16]
	v_fma_f64 v[13:14], -v[17:18], v[4:5], v[15:16]
	v_fma_f64 v[15:16], v[6:7], v[4:5], -v[0:1]
	v_fma_f64 v[4:5], v[6:7], v[4:5], v[0:1]
	s_delay_alu instid0(VALU_DEP_4) | instskip(NEXT) | instid1(VALU_DEP_4)
	v_fma_f64 v[0:1], -v[6:7], v[2:3], v[8:9]
	v_fma_f64 v[6:7], v[6:7], v[2:3], v[13:14]
	s_delay_alu instid0(VALU_DEP_4) | instskip(NEXT) | instid1(VALU_DEP_4)
	v_fma_f64 v[8:9], v[17:18], v[2:3], v[15:16]
	v_fma_f64 v[2:3], v[17:18], v[2:3], v[4:5]
	v_dual_mov_b32 v4, v64 :: v_dual_mov_b32 v5, v65
	ds_store_b128 v12, v[6:9] offset:2816
.LBB0_15:
	s_wait_alu 0xfffe
	s_and_not1_saveexec_b32 s0, s0
	s_cbranch_execz .LBB0_17
; %bb.16:
	ds_load_b128 v[4:7], v68 offset:1408
	s_wait_dscnt 0x0
	v_add_f64_e32 v[13:14], v[4:5], v[4:5]
	v_mul_f64_e32 v[15:16], -2.0, v[6:7]
	v_mov_b32_e32 v4, 0
	v_mov_b32_e32 v5, 0
	ds_store_b128 v68, v[13:16] offset:1408
.LBB0_17:
	s_wait_alu 0xfffe
	s_or_b32 exec_lo, exec_lo, s0
	v_lshlrev_b64_e32 v[4:5], 4, v[4:5]
	s_add_nc_u64 s[0:1], s[4:5], 0xa50
	s_wait_alu 0xfffe
	s_delay_alu instid0(VALU_DEP_1) | instskip(SKIP_1) | instid1(VALU_DEP_2)
	v_add_co_u32 v4, s0, s0, v4
	s_wait_alu 0xf1ff
	v_add_co_ci_u32_e64 v5, s0, s1, v5, s0
	s_mov_b32 s1, exec_lo
	s_clause 0x1
	global_load_b128 v[6:9], v[4:5], off offset:256
	global_load_b128 v[13:16], v[4:5], off offset:512
	ds_store_b128 v69, v[0:3]
	ds_load_b128 v[0:3], v69 offset:256
	ds_load_b128 v[17:20], v12 offset:2560
	global_load_b128 v[21:24], v[4:5], off offset:768
	s_wait_dscnt 0x0
	v_add_f64_e32 v[25:26], v[0:1], v[17:18]
	v_add_f64_e32 v[27:28], v[19:20], v[2:3]
	v_add_f64_e64 v[29:30], v[0:1], -v[17:18]
	v_add_f64_e64 v[0:1], v[2:3], -v[19:20]
	s_wait_loadcnt 0x2
	s_delay_alu instid0(VALU_DEP_2) | instskip(NEXT) | instid1(VALU_DEP_2)
	v_fma_f64 v[2:3], v[29:30], v[8:9], v[25:26]
	v_fma_f64 v[17:18], v[27:28], v[8:9], v[0:1]
	v_fma_f64 v[19:20], -v[29:30], v[8:9], v[25:26]
	v_fma_f64 v[8:9], v[27:28], v[8:9], -v[0:1]
	s_delay_alu instid0(VALU_DEP_4) | instskip(NEXT) | instid1(VALU_DEP_4)
	v_fma_f64 v[0:1], -v[27:28], v[6:7], v[2:3]
	v_fma_f64 v[2:3], v[29:30], v[6:7], v[17:18]
	s_delay_alu instid0(VALU_DEP_4) | instskip(NEXT) | instid1(VALU_DEP_4)
	v_fma_f64 v[17:18], v[27:28], v[6:7], v[19:20]
	v_fma_f64 v[19:20], v[29:30], v[6:7], v[8:9]
	ds_store_b128 v69, v[0:3] offset:256
	ds_store_b128 v12, v[17:20] offset:2560
	ds_load_b128 v[0:3], v69 offset:512
	ds_load_b128 v[6:9], v12 offset:2304
	global_load_b128 v[17:20], v[4:5], off offset:1024
	s_wait_dscnt 0x0
	v_add_f64_e32 v[25:26], v[0:1], v[6:7]
	v_add_f64_e32 v[27:28], v[8:9], v[2:3]
	v_add_f64_e64 v[29:30], v[0:1], -v[6:7]
	v_add_f64_e64 v[0:1], v[2:3], -v[8:9]
	s_wait_loadcnt 0x2
	s_delay_alu instid0(VALU_DEP_2) | instskip(NEXT) | instid1(VALU_DEP_2)
	v_fma_f64 v[2:3], v[29:30], v[15:16], v[25:26]
	v_fma_f64 v[6:7], v[27:28], v[15:16], v[0:1]
	v_fma_f64 v[8:9], -v[29:30], v[15:16], v[25:26]
	v_fma_f64 v[15:16], v[27:28], v[15:16], -v[0:1]
	s_delay_alu instid0(VALU_DEP_4) | instskip(NEXT) | instid1(VALU_DEP_4)
	v_fma_f64 v[0:1], -v[27:28], v[13:14], v[2:3]
	v_fma_f64 v[2:3], v[29:30], v[13:14], v[6:7]
	s_delay_alu instid0(VALU_DEP_4) | instskip(NEXT) | instid1(VALU_DEP_4)
	v_fma_f64 v[6:7], v[27:28], v[13:14], v[8:9]
	v_fma_f64 v[8:9], v[29:30], v[13:14], v[15:16]
	ds_store_b128 v69, v[0:3] offset:512
	ds_store_b128 v12, v[6:9] offset:2304
	ds_load_b128 v[0:3], v69 offset:768
	ds_load_b128 v[6:9], v12 offset:2048
	s_wait_dscnt 0x0
	v_add_f64_e32 v[13:14], v[0:1], v[6:7]
	v_add_f64_e32 v[15:16], v[8:9], v[2:3]
	v_add_f64_e64 v[25:26], v[0:1], -v[6:7]
	v_add_f64_e64 v[0:1], v[2:3], -v[8:9]
	s_wait_loadcnt 0x1
	s_delay_alu instid0(VALU_DEP_2) | instskip(NEXT) | instid1(VALU_DEP_2)
	v_fma_f64 v[2:3], v[25:26], v[23:24], v[13:14]
	v_fma_f64 v[6:7], v[15:16], v[23:24], v[0:1]
	v_fma_f64 v[8:9], -v[25:26], v[23:24], v[13:14]
	v_fma_f64 v[13:14], v[15:16], v[23:24], -v[0:1]
	s_delay_alu instid0(VALU_DEP_4) | instskip(NEXT) | instid1(VALU_DEP_4)
	v_fma_f64 v[0:1], -v[15:16], v[21:22], v[2:3]
	v_fma_f64 v[2:3], v[25:26], v[21:22], v[6:7]
	s_delay_alu instid0(VALU_DEP_4) | instskip(NEXT) | instid1(VALU_DEP_4)
	v_fma_f64 v[6:7], v[15:16], v[21:22], v[8:9]
	v_fma_f64 v[8:9], v[25:26], v[21:22], v[13:14]
	ds_store_b128 v69, v[0:3] offset:768
	ds_store_b128 v12, v[6:9] offset:2048
	ds_load_b128 v[0:3], v69 offset:1024
	ds_load_b128 v[6:9], v12 offset:1792
	s_wait_dscnt 0x0
	v_add_f64_e32 v[13:14], v[0:1], v[6:7]
	v_add_f64_e32 v[15:16], v[8:9], v[2:3]
	v_add_f64_e64 v[21:22], v[0:1], -v[6:7]
	v_add_f64_e64 v[0:1], v[2:3], -v[8:9]
	s_wait_loadcnt 0x0
	s_delay_alu instid0(VALU_DEP_2) | instskip(NEXT) | instid1(VALU_DEP_2)
	v_fma_f64 v[2:3], v[21:22], v[19:20], v[13:14]
	v_fma_f64 v[6:7], v[15:16], v[19:20], v[0:1]
	v_fma_f64 v[8:9], -v[21:22], v[19:20], v[13:14]
	v_fma_f64 v[13:14], v[15:16], v[19:20], -v[0:1]
	s_delay_alu instid0(VALU_DEP_4) | instskip(NEXT) | instid1(VALU_DEP_4)
	v_fma_f64 v[0:1], -v[15:16], v[17:18], v[2:3]
	v_fma_f64 v[2:3], v[21:22], v[17:18], v[6:7]
	s_delay_alu instid0(VALU_DEP_4) | instskip(NEXT) | instid1(VALU_DEP_4)
	v_fma_f64 v[6:7], v[15:16], v[17:18], v[8:9]
	v_fma_f64 v[8:9], v[21:22], v[17:18], v[13:14]
	v_or_b32_e32 v13, 0x50, v64
	ds_store_b128 v69, v[0:3] offset:1024
	ds_store_b128 v12, v[6:9] offset:1792
	v_cmpx_gt_u32_e32 0x58, v13
	s_cbranch_execz .LBB0_19
; %bb.18:
	global_load_b128 v[0:3], v[4:5], off offset:1280
	ds_load_b128 v[4:7], v69 offset:1280
	ds_load_b128 v[13:16], v12 offset:1536
	s_wait_dscnt 0x0
	v_add_f64_e32 v[8:9], v[4:5], v[13:14]
	v_add_f64_e32 v[17:18], v[15:16], v[6:7]
	v_add_f64_e64 v[13:14], v[4:5], -v[13:14]
	v_add_f64_e64 v[4:5], v[6:7], -v[15:16]
	s_wait_loadcnt 0x0
	s_delay_alu instid0(VALU_DEP_2) | instskip(NEXT) | instid1(VALU_DEP_2)
	v_fma_f64 v[6:7], v[13:14], v[2:3], v[8:9]
	v_fma_f64 v[15:16], v[17:18], v[2:3], v[4:5]
	v_fma_f64 v[8:9], -v[13:14], v[2:3], v[8:9]
	v_fma_f64 v[19:20], v[17:18], v[2:3], -v[4:5]
	s_delay_alu instid0(VALU_DEP_4) | instskip(NEXT) | instid1(VALU_DEP_4)
	v_fma_f64 v[2:3], -v[17:18], v[0:1], v[6:7]
	v_fma_f64 v[4:5], v[13:14], v[0:1], v[15:16]
	s_delay_alu instid0(VALU_DEP_4) | instskip(NEXT) | instid1(VALU_DEP_4)
	v_fma_f64 v[6:7], v[17:18], v[0:1], v[8:9]
	v_fma_f64 v[8:9], v[13:14], v[0:1], v[19:20]
	ds_store_b128 v69, v[2:5] offset:1280
	ds_store_b128 v12, v[6:9] offset:1536
.LBB0_19:
	s_wait_alu 0xfffe
	s_or_b32 exec_lo, exec_lo, s1
	v_add3_u32 v65, 0, v11, v10
	global_wb scope:SCOPE_SE
	s_wait_dscnt 0x0
	s_barrier_signal -1
	s_barrier_wait -1
	global_inv scope:SCOPE_SE
	global_wb scope:SCOPE_SE
	s_barrier_signal -1
	s_barrier_wait -1
	global_inv scope:SCOPE_SE
	ds_load_b128 v[4:7], v69
	ds_load_b128 v[24:27], v65 offset:256
	ds_load_b128 v[0:3], v65 offset:2560
	;; [unrolled: 1-line block ×8, first 2 shown]
	s_mov_b32 s0, 0xf8bb580b
	s_mov_b32 s12, 0x8764f0ba
	;; [unrolled: 1-line block ×14, first 2 shown]
	s_wait_dscnt 0x7
	v_add_f64_e32 v[28:29], v[4:5], v[24:25]
	v_add_f64_e32 v[30:31], v[6:7], v[26:27]
	s_wait_dscnt 0x6
	v_add_f64_e64 v[48:49], v[26:27], -v[2:3]
	v_add_f64_e32 v[50:51], v[26:27], v[2:3]
	s_wait_dscnt 0x2
	v_add_f64_e64 v[58:59], v[38:39], -v[14:15]
	v_add_f64_e32 v[70:71], v[36:37], v[12:13]
	v_add_f64_e32 v[72:73], v[38:39], v[14:15]
	v_add_f64_e64 v[74:75], v[36:37], -v[12:13]
	s_mov_b32 s17, 0xbfefac9e
	s_mov_b32 s23, 0xbfc2375f
	;; [unrolled: 1-line block ×6, first 2 shown]
	v_add_f64_e64 v[52:53], v[34:35], -v[10:11]
	v_add_f64_e32 v[60:61], v[24:25], v[0:1]
	v_add_f64_e64 v[62:63], v[24:25], -v[0:1]
	s_wait_dscnt 0x0
	v_add_f64_e32 v[76:77], v[22:23], v[18:19]
	v_add_f64_e64 v[78:79], v[22:23], -v[18:19]
	ds_load_b128 v[40:43], v65 offset:1280
	ds_load_b128 v[44:47], v65 offset:1536
	s_mov_b32 s3, 0x3fe14ced
	s_mov_b32 s11, 0x3fed1bb4
	;; [unrolled: 1-line block ×5, first 2 shown]
	s_wait_alu 0xfffe
	s_mov_b32 s2, s0
	s_mov_b32 s10, s6
	;; [unrolled: 1-line block ×5, first 2 shown]
	v_add_f64_e32 v[84:85], v[32:33], v[8:9]
	global_wb scope:SCOPE_SE
	s_wait_dscnt 0x0
	s_barrier_signal -1
	s_barrier_wait -1
	global_inv scope:SCOPE_SE
	v_add_f64_e32 v[54:55], v[28:29], v[32:33]
	v_add_f64_e32 v[56:57], v[30:31], v[34:35]
	;; [unrolled: 1-line block ×4, first 2 shown]
	v_add_f64_e64 v[28:29], v[20:21], -v[16:17]
	v_mul_f64_e32 v[86:87], s[0:1], v[48:49]
	v_mul_f64_e32 v[88:89], s[12:13], v[50:51]
	v_mul_f64_e32 v[90:91], s[6:7], v[48:49]
	v_mul_f64_e32 v[92:93], s[14:15], v[50:51]
	v_mul_f64_e32 v[94:95], s[16:17], v[48:49]
	v_mul_f64_e32 v[96:97], s[22:23], v[50:51]
	v_mul_f64_e32 v[98:99], s[20:21], v[48:49]
	v_mul_f64_e32 v[48:49], s[24:25], v[48:49]
	v_mul_f64_e32 v[100:101], s[28:29], v[50:51]
	v_mul_f64_e32 v[50:51], s[30:31], v[50:51]
	v_add_f64_e64 v[32:33], v[32:33], -v[8:9]
	v_mul_f64_e32 v[102:103], s[6:7], v[52:53]
	v_mul_f64_e32 v[104:105], s[20:21], v[52:53]
	;; [unrolled: 1-line block ×3, first 2 shown]
	s_wait_alu 0xfffe
	v_mul_f64_e32 v[108:109], s[18:19], v[52:53]
	v_mul_f64_e32 v[52:53], s[2:3], v[52:53]
	;; [unrolled: 1-line block ×12, first 2 shown]
	v_add_f64_e32 v[26:27], v[40:41], v[44:45]
	v_add_f64_e32 v[80:81], v[42:43], v[46:47]
	v_add_f64_e64 v[24:25], v[40:41], -v[44:45]
	v_add_f64_e64 v[82:83], v[42:43], -v[46:47]
	v_mul_f64_e32 v[130:131], s[20:21], v[78:79]
	v_mul_f64_e32 v[132:133], s[18:19], v[78:79]
	;; [unrolled: 1-line block ×3, first 2 shown]
	v_add_f64_e32 v[36:37], v[54:55], v[36:37]
	v_add_f64_e32 v[38:39], v[56:57], v[38:39]
	v_mul_f64_e32 v[54:55], s[14:15], v[34:35]
	v_mul_f64_e32 v[56:57], s[28:29], v[34:35]
	;; [unrolled: 1-line block ×5, first 2 shown]
	v_fma_f64 v[156:157], v[60:61], s[12:13], v[86:87]
	v_fma_f64 v[158:159], v[62:63], s[2:3], v[88:89]
	v_fma_f64 v[86:87], v[60:61], s[12:13], -v[86:87]
	v_fma_f64 v[88:89], v[62:63], s[0:1], v[88:89]
	v_fma_f64 v[160:161], v[60:61], s[22:23], v[94:95]
	;; [unrolled: 1-line block ×3, first 2 shown]
	v_fma_f64 v[94:95], v[60:61], s[22:23], -v[94:95]
	v_fma_f64 v[96:97], v[62:63], s[16:17], v[96:97]
	v_fma_f64 v[164:165], v[60:61], s[28:29], v[98:99]
	v_fma_f64 v[98:99], v[60:61], s[28:29], -v[98:99]
	v_fma_f64 v[166:167], v[60:61], s[30:31], v[48:49]
	v_fma_f64 v[48:49], v[60:61], s[30:31], -v[48:49]
	v_fma_f64 v[168:169], v[62:63], s[34:35], v[50:51]
	v_fma_f64 v[50:51], v[62:63], s[24:25], v[50:51]
	;; [unrolled: 1-line block ×3, first 2 shown]
	v_fma_f64 v[104:105], v[84:85], s[28:29], -v[104:105]
	v_fma_f64 v[172:173], v[84:85], s[30:31], v[106:107]
	v_fma_f64 v[106:107], v[84:85], s[30:31], -v[106:107]
	v_fma_f64 v[174:175], v[84:85], s[22:23], v[108:109]
	;; [unrolled: 2-line block ×3, first 2 shown]
	v_fma_f64 v[52:53], v[84:85], s[12:13], -v[52:53]
	v_mul_f64_e32 v[136:137], s[24:25], v[78:79]
	v_mul_f64_e32 v[78:79], s[10:11], v[78:79]
	;; [unrolled: 1-line block ×7, first 2 shown]
	v_fma_f64 v[186:187], v[70:71], s[12:13], v[120:121]
	v_fma_f64 v[120:121], v[70:71], s[12:13], -v[120:121]
	v_add_f64_e32 v[20:21], v[36:37], v[20:21]
	v_add_f64_e32 v[22:23], v[38:39], v[22:23]
	v_fma_f64 v[36:37], v[60:61], s[14:15], v[90:91]
	v_fma_f64 v[38:39], v[62:63], s[10:11], v[92:93]
	v_fma_f64 v[90:91], v[60:61], s[14:15], -v[90:91]
	v_fma_f64 v[92:93], v[62:63], s[6:7], v[92:93]
	v_fma_f64 v[60:61], v[62:63], s[26:27], v[100:101]
	;; [unrolled: 1-line block ×4, first 2 shown]
	v_fma_f64 v[102:103], v[84:85], s[14:15], -v[102:103]
	v_fma_f64 v[84:85], v[32:33], s[10:11], v[54:55]
	v_fma_f64 v[54:55], v[32:33], s[6:7], v[54:55]
	;; [unrolled: 1-line block ×10, first 2 shown]
	v_add_f64_e32 v[156:157], v[4:5], v[156:157]
	v_add_f64_e32 v[86:87], v[4:5], v[86:87]
	;; [unrolled: 1-line block ×12, first 2 shown]
	v_fma_f64 v[34:35], v[70:71], s[22:23], v[114:115]
	v_fma_f64 v[188:189], v[70:71], s[28:29], v[58:59]
	v_fma_f64 v[58:59], v[70:71], s[28:29], -v[58:59]
	v_mul_f64_e32 v[146:147], s[24:25], v[82:83]
	v_mul_f64_e32 v[148:149], s[2:3], v[82:83]
	;; [unrolled: 1-line block ×3, first 2 shown]
	v_add_f64_e32 v[20:21], v[20:21], v[40:41]
	v_add_f64_e32 v[22:23], v[22:23], v[42:43]
	;; [unrolled: 1-line block ×10, first 2 shown]
	v_fma_f64 v[40:41], v[70:71], s[22:23], -v[114:115]
	v_fma_f64 v[42:43], v[70:71], s[30:31], v[116:117]
	v_fma_f64 v[114:115], v[70:71], s[30:31], -v[116:117]
	v_fma_f64 v[116:117], v[70:71], s[14:15], v[118:119]
	;; [unrolled: 2-line block ×3, first 2 shown]
	v_fma_f64 v[122:123], v[74:75], s[16:17], v[122:123]
	v_fma_f64 v[48:49], v[74:75], s[24:25], v[124:125]
	;; [unrolled: 1-line block ×5, first 2 shown]
	v_add_f64_e32 v[62:63], v[62:63], v[156:157]
	v_add_f64_e32 v[86:87], v[102:103], v[86:87]
	;; [unrolled: 1-line block ×11, first 2 shown]
	v_mul_f64_e32 v[152:153], s[10:11], v[82:83]
	v_mul_f64_e32 v[82:83], s[16:17], v[82:83]
	v_mul_f64_e32 v[154:155], s[12:13], v[80:81]
	v_mul_f64_e32 v[156:157], s[14:15], v[80:81]
	v_mul_f64_e32 v[102:103], s[22:23], v[80:81]
	v_fma_f64 v[88:89], v[30:31], s[28:29], v[130:131]
	v_add_f64_e32 v[20:21], v[20:21], v[44:45]
	v_add_f64_e32 v[22:23], v[22:23], v[46:47]
	v_fma_f64 v[44:45], v[74:75], s[2:3], v[128:129]
	v_fma_f64 v[46:47], v[74:75], s[0:1], v[128:129]
	v_fma_f64 v[128:129], v[74:75], s[26:27], v[72:73]
	v_fma_f64 v[72:73], v[74:75], s[20:21], v[72:73]
	v_add_f64_e32 v[36:37], v[170:171], v[36:37]
	v_add_f64_e32 v[38:39], v[178:179], v[38:39]
	;; [unrolled: 1-line block ×9, first 2 shown]
	v_mul_f64_e32 v[74:75], s[28:29], v[80:81]
	v_mul_f64_e32 v[80:81], s[30:31], v[80:81]
	v_fma_f64 v[130:131], v[30:31], s[28:29], -v[130:131]
	v_fma_f64 v[170:171], v[30:31], s[22:23], v[132:133]
	v_fma_f64 v[132:133], v[30:31], s[22:23], -v[132:133]
	v_fma_f64 v[178:179], v[30:31], s[12:13], v[134:135]
	;; [unrolled: 2-line block ×4, first 2 shown]
	v_fma_f64 v[96:97], v[28:29], s[18:19], v[140:141]
	v_fma_f64 v[100:101], v[28:29], s[2:3], v[142:143]
	;; [unrolled: 1-line block ×5, first 2 shown]
	v_add_f64_e32 v[34:35], v[34:35], v[62:63]
	v_add_f64_e32 v[40:41], v[40:41], v[86:87]
	;; [unrolled: 1-line block ×6, first 2 shown]
	v_fma_f64 v[142:143], v[26:27], s[30:31], -v[146:147]
	v_fma_f64 v[108:109], v[24:25], s[10:11], v[156:157]
	v_add_f64_e32 v[16:17], v[20:21], v[16:17]
	v_add_f64_e32 v[18:19], v[22:23], v[18:19]
	v_fma_f64 v[20:21], v[30:31], s[14:15], v[78:79]
	v_fma_f64 v[22:23], v[30:31], s[14:15], -v[78:79]
	v_fma_f64 v[30:31], v[28:29], s[26:27], v[138:139]
	v_fma_f64 v[78:79], v[28:29], s[20:21], v[138:139]
	;; [unrolled: 1-line block ×4, first 2 shown]
	v_add_f64_e32 v[36:37], v[42:43], v[36:37]
	v_add_f64_e32 v[38:39], v[48:49], v[38:39]
	;; [unrolled: 1-line block ×14, first 2 shown]
	v_fma_f64 v[76:77], v[26:27], s[30:31], v[146:147]
	v_fma_f64 v[144:145], v[26:27], s[12:13], v[148:149]
	v_fma_f64 v[146:147], v[26:27], s[12:13], -v[148:149]
	v_fma_f64 v[56:57], v[26:27], s[14:15], v[152:153]
	v_fma_f64 v[58:59], v[26:27], s[14:15], -v[152:153]
	v_fma_f64 v[70:71], v[26:27], s[22:23], v[82:83]
	v_fma_f64 v[72:73], v[24:25], s[0:1], v[154:155]
	;; [unrolled: 1-line block ×9, first 2 shown]
	v_add_f64_e32 v[62:63], v[100:101], v[62:63]
	v_add_f64_e32 v[86:87], v[134:135], v[86:87]
	;; [unrolled: 1-line block ×4, first 2 shown]
	v_fma_f64 v[16:17], v[26:27], s[28:29], v[150:151]
	v_fma_f64 v[18:19], v[26:27], s[28:29], -v[150:151]
	v_fma_f64 v[26:27], v[26:27], s[22:23], -v[82:83]
	v_fma_f64 v[82:83], v[24:25], s[2:3], v[154:155]
	v_add_f64_e32 v[24:25], v[88:89], v[34:35]
	v_add_f64_e32 v[34:35], v[130:131], v[40:41]
	;; [unrolled: 1-line block ×18, first 2 shown]
	v_cmp_gt_u32_e64 s0, 11, v64
	v_add_f64_e32 v[96:97], v[12:13], v[8:9]
	v_add_f64_e32 v[98:99], v[14:15], v[10:11]
	v_add_f64_e32 v[14:15], v[84:85], v[62:63]
                                        ; implicit-def: $vgpr62_vgpr63
	v_add_f64_e32 v[4:5], v[76:77], v[24:25]
	v_add_f64_e32 v[40:41], v[142:143], v[34:35]
	;; [unrolled: 1-line block ×19, first 2 shown]
	v_mad_u32_u24 v44, 0xa0, v64, v65
                                        ; implicit-def: $vgpr46_vgpr47
                                        ; implicit-def: $vgpr50_vgpr51
                                        ; implicit-def: $vgpr54_vgpr55
                                        ; implicit-def: $vgpr58_vgpr59
	v_add_f64_e32 v[0:1], v[96:97], v[0:1]
	v_add_f64_e32 v[2:3], v[98:99], v[2:3]
	ds_store_b128 v44, v[8:11] offset:32
	ds_store_b128 v44, v[12:15] offset:48
	;; [unrolled: 1-line block ×10, first 2 shown]
	ds_store_b128 v44, v[0:3]
	global_wb scope:SCOPE_SE
	s_wait_dscnt 0x0
	s_barrier_signal -1
	s_barrier_wait -1
	global_inv scope:SCOPE_SE
	s_and_saveexec_b32 s1, s0
	s_cbranch_execz .LBB0_21
; %bb.20:
	ds_load_b128 v[0:3], v69
	ds_load_b128 v[4:7], v65 offset:176
	ds_load_b128 v[8:11], v65 offset:352
	;; [unrolled: 1-line block ×15, first 2 shown]
.LBB0_21:
	s_wait_alu 0xfffe
	s_or_b32 exec_lo, exec_lo, s1
	global_wb scope:SCOPE_SE
	s_wait_dscnt 0x0
	s_barrier_signal -1
	s_barrier_wait -1
	global_inv scope:SCOPE_SE
	s_and_saveexec_b32 s6, s0
	s_cbranch_execz .LBB0_23
; %bb.22:
	v_dual_mov_b32 v71, 0 :: v_dual_add_nc_u32 v70, -11, v64
	s_mov_b32 s3, 0xbfe6a09e
	s_mov_b32 s10, 0xa6aea964
	;; [unrolled: 1-line block ×3, first 2 shown]
	s_delay_alu instid0(VALU_DEP_1)
	v_cndmask_b32_e64 v70, v70, v64, s0
	s_mov_b32 s13, 0x3fd87de2
	s_wait_alu 0xfffe
	s_mov_b32 s12, s10
	s_mov_b32 s15, 0xbfed906b
	v_mul_i32_i24_e32 v70, 15, v70
	s_delay_alu instid0(VALU_DEP_1) | instskip(NEXT) | instid1(VALU_DEP_1)
	v_lshlrev_b64_e32 v[70:71], 4, v[70:71]
	v_add_co_u32 v126, s0, s4, v70
	s_wait_alu 0xf1ff
	s_delay_alu instid0(VALU_DEP_2)
	v_add_co_ci_u32_e64 v127, s0, s5, v71, s0
	s_mov_b32 s0, 0x667f3bcd
	s_mov_b32 s1, 0x3fe6a09e
	s_wait_alu 0xfffe
	s_mov_b32 s2, s0
	s_clause 0xe
	global_load_b128 v[70:73], v[126:127], off offset:16
	global_load_b128 v[74:77], v[126:127], off offset:144
	;; [unrolled: 1-line block ×7, first 2 shown]
	global_load_b128 v[98:101], v[126:127], off
	global_load_b128 v[102:105], v[126:127], off offset:128
	global_load_b128 v[106:109], v[126:127], off offset:64
	;; [unrolled: 1-line block ×7, first 2 shown]
	s_mov_b32 s4, 0xcf328d46
	s_mov_b32 s5, 0x3fed906b
	s_wait_alu 0xfffe
	s_mov_b32 s14, s4
	s_wait_loadcnt 0xe
	v_mul_f64_e32 v[130:131], v[8:9], v[72:73]
	s_wait_loadcnt 0xd
	v_mul_f64_e32 v[132:133], v[40:41], v[76:77]
	;; [unrolled: 2-line block ×7, first 2 shown]
	v_mul_f64_e32 v[72:73], v[10:11], v[72:73]
	v_mul_f64_e32 v[76:77], v[42:43], v[76:77]
	;; [unrolled: 1-line block ×4, first 2 shown]
	s_wait_loadcnt 0x7
	v_mul_f64_e32 v[144:145], v[4:5], v[100:101]
	s_wait_loadcnt 0x6
	v_mul_f64_e32 v[146:147], v[36:37], v[104:105]
	s_wait_loadcnt 0x5
	v_mul_f64_e32 v[148:149], v[22:23], v[108:109]
	s_wait_loadcnt 0x4
	v_mul_f64_e32 v[150:151], v[54:55], v[112:113]
	s_wait_loadcnt 0x3
	v_mul_f64_e32 v[152:153], v[12:13], v[116:117]
	s_wait_loadcnt 0x2
	v_mul_f64_e32 v[154:155], v[44:45], v[120:121]
	s_wait_loadcnt 0x1
	v_mul_f64_e32 v[156:157], v[30:31], v[124:125]
	s_wait_loadcnt 0x0
	v_mul_f64_e32 v[158:159], v[62:63], v[128:129]
	v_mul_f64_e32 v[116:117], v[14:15], v[116:117]
	v_mul_f64_e32 v[120:121], v[46:47], v[120:121]
	;; [unrolled: 1-line block ×11, first 2 shown]
	v_fma_f64 v[10:11], v[10:11], v[70:71], -v[130:131]
	v_fma_f64 v[42:43], v[42:43], v[74:75], -v[132:133]
	v_fma_f64 v[32:33], v[32:33], v[78:79], v[134:135]
	v_fma_f64 v[56:57], v[56:57], v[82:83], v[136:137]
	v_fma_f64 v[26:27], v[26:27], v[86:87], -v[138:139]
	v_fma_f64 v[16:17], v[16:17], v[90:91], v[140:141]
	v_fma_f64 v[48:49], v[48:49], v[94:95], v[142:143]
	;; [unrolled: 1-line block ×4, first 2 shown]
	v_fma_f64 v[34:35], v[34:35], v[78:79], -v[80:81]
	v_fma_f64 v[58:59], v[58:59], v[82:83], -v[84:85]
	v_fma_f64 v[6:7], v[6:7], v[98:99], -v[144:145]
	v_fma_f64 v[38:39], v[38:39], v[102:103], -v[146:147]
	v_fma_f64 v[20:21], v[20:21], v[106:107], v[148:149]
	v_fma_f64 v[52:53], v[52:53], v[110:111], v[150:151]
	v_fma_f64 v[14:15], v[14:15], v[114:115], -v[152:153]
	v_fma_f64 v[46:47], v[46:47], v[118:119], -v[154:155]
	v_fma_f64 v[28:29], v[28:29], v[122:123], v[156:157]
	v_fma_f64 v[60:61], v[60:61], v[126:127], v[158:159]
	;; [unrolled: 1-line block ×4, first 2 shown]
	v_fma_f64 v[30:31], v[30:31], v[122:123], -v[124:125]
	v_fma_f64 v[62:63], v[62:63], v[126:127], -v[128:129]
	v_fma_f64 v[4:5], v[4:5], v[98:99], v[100:101]
	v_fma_f64 v[36:37], v[36:37], v[102:103], v[104:105]
	v_fma_f64 v[22:23], v[22:23], v[106:107], -v[108:109]
	v_fma_f64 v[54:55], v[54:55], v[110:111], -v[112:113]
	;; [unrolled: 1-line block ×4, first 2 shown]
	v_fma_f64 v[24:25], v[24:25], v[86:87], v[88:89]
	v_add_f64_e64 v[42:43], v[10:11], -v[42:43]
	v_add_f64_e64 v[56:57], v[32:33], -v[56:57]
	;; [unrolled: 1-line block ×16, first 2 shown]
	v_fma_f64 v[10:11], v[10:11], 2.0, -v[42:43]
	v_add_f64_e64 v[72:73], v[42:43], -v[56:57]
	v_fma_f64 v[2:3], v[2:3], 2.0, -v[26:27]
	v_fma_f64 v[32:33], v[32:33], 2.0, -v[56:57]
	v_add_f64_e64 v[70:71], v[26:27], -v[48:49]
	v_fma_f64 v[16:17], v[16:17], 2.0, -v[48:49]
	v_fma_f64 v[8:9], v[8:9], 2.0, -v[40:41]
	v_add_f64_e32 v[74:75], v[40:41], v[58:59]
	v_fma_f64 v[34:35], v[34:35], 2.0, -v[58:59]
	v_fma_f64 v[6:7], v[6:7], 2.0, -v[38:39]
	v_add_f64_e64 v[76:77], v[38:39], -v[52:53]
	v_fma_f64 v[20:21], v[20:21], 2.0, -v[52:53]
	v_fma_f64 v[14:15], v[14:15], 2.0, -v[46:47]
	v_add_f64_e64 v[78:79], v[46:47], -v[60:61]
	v_fma_f64 v[28:29], v[28:29], 2.0, -v[60:61]
	v_fma_f64 v[12:13], v[12:13], 2.0, -v[44:45]
	v_add_f64_e32 v[80:81], v[44:45], v[62:63]
	v_fma_f64 v[30:31], v[30:31], 2.0, -v[62:63]
	v_fma_f64 v[4:5], v[4:5], 2.0, -v[36:37]
	v_add_f64_e32 v[82:83], v[36:37], v[54:55]
	v_fma_f64 v[22:23], v[22:23], 2.0, -v[54:55]
	v_fma_f64 v[18:19], v[18:19], 2.0, -v[50:51]
	v_add_f64_e32 v[84:85], v[24:25], v[50:51]
	v_fma_f64 v[0:1], v[0:1], 2.0, -v[24:25]
	v_fma_f64 v[42:43], v[42:43], 2.0, -v[72:73]
	;; [unrolled: 1-line block ×3, first 2 shown]
	v_fma_f64 v[48:49], v[72:73], s[0:1], v[70:71]
	v_add_f64_e64 v[32:33], v[8:9], -v[32:33]
	v_fma_f64 v[40:41], v[40:41], 2.0, -v[74:75]
	v_add_f64_e64 v[34:35], v[10:11], -v[34:35]
	v_fma_f64 v[38:39], v[38:39], 2.0, -v[76:77]
	v_fma_f64 v[46:47], v[46:47], 2.0, -v[78:79]
	v_fma_f64 v[50:51], v[78:79], s[0:1], v[76:77]
	v_add_f64_e64 v[28:29], v[12:13], -v[28:29]
	v_fma_f64 v[44:45], v[44:45], 2.0, -v[80:81]
	v_add_f64_e64 v[30:31], v[14:15], -v[30:31]
	v_add_f64_e64 v[20:21], v[4:5], -v[20:21]
	v_fma_f64 v[36:37], v[36:37], 2.0, -v[82:83]
	v_fma_f64 v[52:53], v[80:81], s[0:1], v[82:83]
	v_add_f64_e64 v[18:19], v[2:3], -v[18:19]
	v_fma_f64 v[24:25], v[24:25], 2.0, -v[84:85]
	v_fma_f64 v[54:55], v[74:75], s[0:1], v[84:85]
	v_add_f64_e64 v[22:23], v[6:7], -v[22:23]
	v_add_f64_e64 v[16:17], v[0:1], -v[16:17]
	v_fma_f64 v[56:57], v[42:43], s[2:3], v[26:27]
	v_fma_f64 v[48:49], v[74:75], s[2:3], v[48:49]
	v_fma_f64 v[8:9], v[8:9], 2.0, -v[32:33]
	v_fma_f64 v[10:11], v[10:11], 2.0, -v[34:35]
	v_fma_f64 v[58:59], v[46:47], s[2:3], v[38:39]
	v_fma_f64 v[50:51], v[80:81], s[2:3], v[50:51]
	v_fma_f64 v[12:13], v[12:13], 2.0, -v[28:29]
	v_fma_f64 v[14:15], v[14:15], 2.0, -v[30:31]
	v_add_f64_e32 v[74:75], v[20:21], v[30:31]
	v_fma_f64 v[4:5], v[4:5], 2.0, -v[20:21]
	v_fma_f64 v[60:61], v[44:45], s[2:3], v[36:37]
	v_fma_f64 v[52:53], v[78:79], s[0:1], v[52:53]
	v_fma_f64 v[2:3], v[2:3], 2.0, -v[18:19]
	v_fma_f64 v[62:63], v[40:41], s[2:3], v[24:25]
	v_fma_f64 v[54:55], v[72:73], s[0:1], v[54:55]
	v_add_f64_e64 v[72:73], v[18:19], -v[32:33]
	v_add_f64_e64 v[28:29], v[22:23], -v[28:29]
	v_add_f64_e32 v[78:79], v[16:17], v[34:35]
	v_fma_f64 v[0:1], v[0:1], 2.0, -v[16:17]
	v_fma_f64 v[6:7], v[6:7], 2.0, -v[22:23]
	v_fma_f64 v[56:57], v[40:41], s[2:3], v[56:57]
	v_fma_f64 v[30:31], v[44:45], s[2:3], v[58:59]
	v_fma_f64 v[44:45], v[70:71], 2.0, -v[48:49]
	v_fma_f64 v[32:33], v[46:47], s[0:1], v[60:61]
	v_fma_f64 v[34:35], v[82:83], 2.0, -v[52:53]
	v_add_f64_e64 v[40:41], v[2:3], -v[10:11]
	v_fma_f64 v[58:59], v[42:43], s[0:1], v[62:63]
	v_add_f64_e64 v[10:11], v[4:5], -v[12:13]
	v_fma_f64 v[60:61], v[18:19], 2.0, -v[72:73]
	v_fma_f64 v[22:23], v[22:23], 2.0, -v[28:29]
	;; [unrolled: 1-line block ×6, first 2 shown]
	v_add_f64_e64 v[46:47], v[0:1], -v[8:9]
	v_add_f64_e64 v[8:9], v[6:7], -v[14:15]
	v_fma_f64 v[16:17], v[28:29], s[0:1], v[72:73]
	v_fma_f64 v[20:21], v[74:75], s[0:1], v[78:79]
	;; [unrolled: 1-line block ×3, first 2 shown]
	v_fma_f64 v[76:77], v[26:27], 2.0, -v[56:57]
	v_fma_f64 v[38:39], v[38:39], 2.0, -v[30:31]
	v_fma_f64 v[26:27], v[30:31], s[12:13], v[56:57]
	v_fma_f64 v[36:37], v[36:37], 2.0, -v[32:33]
	v_fma_f64 v[90:91], v[2:3], 2.0, -v[40:41]
	v_fma_f64 v[80:81], v[24:25], 2.0, -v[58:59]
	v_fma_f64 v[24:25], v[52:53], s[4:5], v[54:55]
	v_fma_f64 v[42:43], v[32:33], s[12:13], v[58:59]
	;; [unrolled: 1-line block ×3, first 2 shown]
	v_fma_f64 v[96:97], v[4:5], 2.0, -v[10:11]
	v_fma_f64 v[86:87], v[18:19], s[2:3], v[62:63]
	v_fma_f64 v[82:83], v[12:13], s[10:11], v[44:45]
	;; [unrolled: 1-line block ×3, first 2 shown]
	v_fma_f64 v[94:95], v[0:1], 2.0, -v[46:47]
	v_fma_f64 v[92:93], v[6:7], 2.0, -v[8:9]
	v_fma_f64 v[6:7], v[74:75], s[2:3], v[16:17]
	v_fma_f64 v[4:5], v[28:29], s[0:1], v[20:21]
	;; [unrolled: 1-line block ×3, first 2 shown]
	v_add_f64_e64 v[10:11], v[40:41], -v[10:11]
	v_add_f64_e32 v[8:9], v[46:47], v[8:9]
	s_wait_alu 0xfffe
	v_fma_f64 v[98:99], v[38:39], s[14:15], v[76:77]
	v_fma_f64 v[100:101], v[36:37], s[14:15], v[80:81]
	;; [unrolled: 1-line block ×9, first 2 shown]
	v_add_f64_e64 v[26:27], v[90:91], -v[92:93]
	v_add_f64_e64 v[24:25], v[94:95], -v[96:97]
	v_fma_f64 v[34:35], v[48:49], 2.0, -v[2:3]
	v_fma_f64 v[42:43], v[40:41], 2.0, -v[10:11]
	;; [unrolled: 1-line block ×3, first 2 shown]
	v_fma_f64 v[30:31], v[36:37], s[10:11], v[98:99]
	v_fma_f64 v[36:37], v[78:79], 2.0, -v[4:5]
	v_fma_f64 v[28:29], v[38:39], s[12:13], v[100:101]
	v_fma_f64 v[38:39], v[72:73], 2.0, -v[6:7]
	v_fma_f64 v[32:33], v[54:55], 2.0, -v[0:1]
	;; [unrolled: 1-line block ×12, first 2 shown]
	ds_store_b128 v65, v[36:39] offset:1056
	ds_store_b128 v65, v[32:35] offset:1232
	;; [unrolled: 1-line block ×12, first 2 shown]
	ds_store_b128 v69, v[56:59]
	ds_store_b128 v65, v[60:63] offset:176
	ds_store_b128 v65, v[4:7] offset:2464
	;; [unrolled: 1-line block ×3, first 2 shown]
.LBB0_23:
	s_wait_alu 0xfffe
	s_or_b32 exec_lo, exec_lo, s6
	global_wb scope:SCOPE_SE
	s_wait_dscnt 0x0
	s_barrier_signal -1
	s_barrier_wait -1
	global_inv scope:SCOPE_SE
	s_and_saveexec_b32 s0, vcc_lo
	s_cbranch_execz .LBB0_25
; %bb.24:
	v_lshl_add_u32 v28, v64, 4, v68
	v_dual_mov_b32 v65, 0 :: v_dual_add_nc_u32 v8, 16, v64
	v_add_co_u32 v30, vcc_lo, s8, v66
	ds_load_b128 v[0:3], v28
	ds_load_b128 v[4:7], v28 offset:256
	v_dual_mov_b32 v9, v65 :: v_dual_add_nc_u32 v12, 32, v64
	v_lshlrev_b64_e32 v[10:11], 4, v[64:65]
	s_wait_alu 0xfffd
	v_add_co_ci_u32_e32 v31, vcc_lo, s9, v67, vcc_lo
	s_delay_alu instid0(VALU_DEP_3) | instskip(SKIP_1) | instid1(VALU_DEP_4)
	v_lshlrev_b64_e32 v[8:9], 4, v[8:9]
	v_dual_mov_b32 v13, v65 :: v_dual_add_nc_u32 v14, 48, v64
	v_add_co_u32 v10, vcc_lo, v30, v10
	s_wait_alu 0xfffd
	v_add_co_ci_u32_e32 v11, vcc_lo, v31, v11, vcc_lo
	s_delay_alu instid0(VALU_DEP_4)
	v_add_co_u32 v8, vcc_lo, v30, v8
	s_wait_alu 0xfffd
	v_add_co_ci_u32_e32 v9, vcc_lo, v31, v9, vcc_lo
	v_lshlrev_b64_e32 v[12:13], 4, v[12:13]
	v_mov_b32_e32 v15, v65
	v_dual_mov_b32 v23, v65 :: v_dual_add_nc_u32 v24, 0x60, v64
	s_wait_dscnt 0x1
	global_store_b128 v[10:11], v[0:3], off
	s_wait_dscnt 0x0
	global_store_b128 v[8:9], v[4:7], off
	v_dual_mov_b32 v9, v65 :: v_dual_add_nc_u32 v8, 64, v64
	v_add_nc_u32_e32 v22, 0x50, v64
	ds_load_b128 v[0:3], v28 offset:512
	ds_load_b128 v[4:7], v28 offset:768
	v_add_co_u32 v16, vcc_lo, v30, v12
	s_wait_alu 0xfffd
	v_add_co_ci_u32_e32 v17, vcc_lo, v31, v13, vcc_lo
	v_lshlrev_b64_e32 v[18:19], 4, v[14:15]
	v_lshlrev_b64_e32 v[20:21], 4, v[8:9]
	ds_load_b128 v[8:11], v28 offset:1024
	ds_load_b128 v[12:15], v28 offset:1280
	v_lshlrev_b64_e32 v[22:23], 4, v[22:23]
	v_mov_b32_e32 v25, v65
	v_add_co_u32 v18, vcc_lo, v30, v18
	s_wait_alu 0xfffd
	v_add_co_ci_u32_e32 v19, vcc_lo, v31, v19, vcc_lo
	v_add_co_u32 v20, vcc_lo, v30, v20
	s_wait_alu 0xfffd
	v_add_co_ci_u32_e32 v21, vcc_lo, v31, v21, vcc_lo
	v_add_co_u32 v22, vcc_lo, v30, v22
	s_wait_dscnt 0x3
	global_store_b128 v[16:17], v[0:3], off
	s_wait_dscnt 0x2
	global_store_b128 v[18:19], v[4:7], off
	v_dual_mov_b32 v3, v65 :: v_dual_add_nc_u32 v2, 0x70, v64
	s_wait_alu 0xfffd
	v_add_co_ci_u32_e32 v23, vcc_lo, v31, v23, vcc_lo
	v_lshlrev_b64_e32 v[0:1], 4, v[24:25]
	s_wait_dscnt 0x1
	global_store_b128 v[20:21], v[8:11], off
	s_wait_dscnt 0x0
	global_store_b128 v[22:23], v[12:15], off
	v_add_nc_u32_e32 v10, 0x80, v64
	v_lshlrev_b64_e32 v[8:9], 4, v[2:3]
	v_dual_mov_b32 v11, v65 :: v_dual_add_nc_u32 v24, 0x90, v64
	v_add_co_u32 v20, vcc_lo, v30, v0
	s_wait_alu 0xfffd
	v_add_co_ci_u32_e32 v21, vcc_lo, v31, v1, vcc_lo
	s_delay_alu instid0(VALU_DEP_4)
	v_add_co_u32 v22, vcc_lo, v30, v8
	ds_load_b128 v[0:3], v28 offset:1536
	ds_load_b128 v[4:7], v28 offset:1792
	s_wait_alu 0xfffd
	v_add_co_ci_u32_e32 v23, vcc_lo, v31, v9, vcc_lo
	v_lshlrev_b64_e32 v[26:27], 4, v[10:11]
	ds_load_b128 v[8:11], v28 offset:2048
	ds_load_b128 v[12:15], v28 offset:2304
	;; [unrolled: 1-line block ×3, first 2 shown]
	v_add_nc_u32_e32 v64, 0xa0, v64
	v_lshlrev_b64_e32 v[24:25], 4, v[24:25]
	v_add_co_u32 v26, vcc_lo, v30, v26
	s_delay_alu instid0(VALU_DEP_3) | instskip(SKIP_2) | instid1(VALU_DEP_4)
	v_lshlrev_b64_e32 v[28:29], 4, v[64:65]
	s_wait_alu 0xfffd
	v_add_co_ci_u32_e32 v27, vcc_lo, v31, v27, vcc_lo
	v_add_co_u32 v24, vcc_lo, v30, v24
	s_wait_alu 0xfffd
	v_add_co_ci_u32_e32 v25, vcc_lo, v31, v25, vcc_lo
	v_add_co_u32 v28, vcc_lo, v30, v28
	s_wait_alu 0xfffd
	v_add_co_ci_u32_e32 v29, vcc_lo, v31, v29, vcc_lo
	s_wait_dscnt 0x4
	global_store_b128 v[20:21], v[0:3], off
	s_wait_dscnt 0x3
	global_store_b128 v[22:23], v[4:7], off
	;; [unrolled: 2-line block ×5, first 2 shown]
.LBB0_25:
	s_nop 0
	s_sendmsg sendmsg(MSG_DEALLOC_VGPRS)
	s_endpgm
	.section	.rodata,"a",@progbits
	.p2align	6, 0x0
	.amdhsa_kernel fft_rtc_back_len176_factors_11_16_wgs_64_tpt_16_halfLds_dp_ip_CI_unitstride_sbrr_C2R_dirReg
		.amdhsa_group_segment_fixed_size 0
		.amdhsa_private_segment_fixed_size 0
		.amdhsa_kernarg_size 88
		.amdhsa_user_sgpr_count 2
		.amdhsa_user_sgpr_dispatch_ptr 0
		.amdhsa_user_sgpr_queue_ptr 0
		.amdhsa_user_sgpr_kernarg_segment_ptr 1
		.amdhsa_user_sgpr_dispatch_id 0
		.amdhsa_user_sgpr_private_segment_size 0
		.amdhsa_wavefront_size32 1
		.amdhsa_uses_dynamic_stack 0
		.amdhsa_enable_private_segment 0
		.amdhsa_system_sgpr_workgroup_id_x 1
		.amdhsa_system_sgpr_workgroup_id_y 0
		.amdhsa_system_sgpr_workgroup_id_z 0
		.amdhsa_system_sgpr_workgroup_info 0
		.amdhsa_system_vgpr_workitem_id 0
		.amdhsa_next_free_vgpr 190
		.amdhsa_next_free_sgpr 36
		.amdhsa_reserve_vcc 1
		.amdhsa_float_round_mode_32 0
		.amdhsa_float_round_mode_16_64 0
		.amdhsa_float_denorm_mode_32 3
		.amdhsa_float_denorm_mode_16_64 3
		.amdhsa_fp16_overflow 0
		.amdhsa_workgroup_processor_mode 1
		.amdhsa_memory_ordered 1
		.amdhsa_forward_progress 0
		.amdhsa_round_robin_scheduling 0
		.amdhsa_exception_fp_ieee_invalid_op 0
		.amdhsa_exception_fp_denorm_src 0
		.amdhsa_exception_fp_ieee_div_zero 0
		.amdhsa_exception_fp_ieee_overflow 0
		.amdhsa_exception_fp_ieee_underflow 0
		.amdhsa_exception_fp_ieee_inexact 0
		.amdhsa_exception_int_div_zero 0
	.end_amdhsa_kernel
	.text
.Lfunc_end0:
	.size	fft_rtc_back_len176_factors_11_16_wgs_64_tpt_16_halfLds_dp_ip_CI_unitstride_sbrr_C2R_dirReg, .Lfunc_end0-fft_rtc_back_len176_factors_11_16_wgs_64_tpt_16_halfLds_dp_ip_CI_unitstride_sbrr_C2R_dirReg
                                        ; -- End function
	.section	.AMDGPU.csdata,"",@progbits
; Kernel info:
; codeLenInByte = 7928
; NumSgprs: 38
; NumVgprs: 190
; ScratchSize: 0
; MemoryBound: 0
; FloatMode: 240
; IeeeMode: 1
; LDSByteSize: 0 bytes/workgroup (compile time only)
; SGPRBlocks: 4
; VGPRBlocks: 23
; NumSGPRsForWavesPerEU: 38
; NumVGPRsForWavesPerEU: 190
; Occupancy: 8
; WaveLimiterHint : 1
; COMPUTE_PGM_RSRC2:SCRATCH_EN: 0
; COMPUTE_PGM_RSRC2:USER_SGPR: 2
; COMPUTE_PGM_RSRC2:TRAP_HANDLER: 0
; COMPUTE_PGM_RSRC2:TGID_X_EN: 1
; COMPUTE_PGM_RSRC2:TGID_Y_EN: 0
; COMPUTE_PGM_RSRC2:TGID_Z_EN: 0
; COMPUTE_PGM_RSRC2:TIDIG_COMP_CNT: 0
	.text
	.p2alignl 7, 3214868480
	.fill 96, 4, 3214868480
	.type	__hip_cuid_52e6425cc01edaa7,@object ; @__hip_cuid_52e6425cc01edaa7
	.section	.bss,"aw",@nobits
	.globl	__hip_cuid_52e6425cc01edaa7
__hip_cuid_52e6425cc01edaa7:
	.byte	0                               ; 0x0
	.size	__hip_cuid_52e6425cc01edaa7, 1

	.ident	"AMD clang version 19.0.0git (https://github.com/RadeonOpenCompute/llvm-project roc-6.4.0 25133 c7fe45cf4b819c5991fe208aaa96edf142730f1d)"
	.section	".note.GNU-stack","",@progbits
	.addrsig
	.addrsig_sym __hip_cuid_52e6425cc01edaa7
	.amdgpu_metadata
---
amdhsa.kernels:
  - .args:
      - .actual_access:  read_only
        .address_space:  global
        .offset:         0
        .size:           8
        .value_kind:     global_buffer
      - .offset:         8
        .size:           8
        .value_kind:     by_value
      - .actual_access:  read_only
        .address_space:  global
        .offset:         16
        .size:           8
        .value_kind:     global_buffer
      - .actual_access:  read_only
        .address_space:  global
        .offset:         24
        .size:           8
        .value_kind:     global_buffer
      - .offset:         32
        .size:           8
        .value_kind:     by_value
      - .actual_access:  read_only
        .address_space:  global
        .offset:         40
        .size:           8
        .value_kind:     global_buffer
      - .actual_access:  read_only
        .address_space:  global
        .offset:         48
        .size:           8
        .value_kind:     global_buffer
      - .offset:         56
        .size:           4
        .value_kind:     by_value
      - .actual_access:  read_only
        .address_space:  global
        .offset:         64
        .size:           8
        .value_kind:     global_buffer
      - .actual_access:  read_only
        .address_space:  global
        .offset:         72
        .size:           8
        .value_kind:     global_buffer
      - .address_space:  global
        .offset:         80
        .size:           8
        .value_kind:     global_buffer
    .group_segment_fixed_size: 0
    .kernarg_segment_align: 8
    .kernarg_segment_size: 88
    .language:       OpenCL C
    .language_version:
      - 2
      - 0
    .max_flat_workgroup_size: 64
    .name:           fft_rtc_back_len176_factors_11_16_wgs_64_tpt_16_halfLds_dp_ip_CI_unitstride_sbrr_C2R_dirReg
    .private_segment_fixed_size: 0
    .sgpr_count:     38
    .sgpr_spill_count: 0
    .symbol:         fft_rtc_back_len176_factors_11_16_wgs_64_tpt_16_halfLds_dp_ip_CI_unitstride_sbrr_C2R_dirReg.kd
    .uniform_work_group_size: 1
    .uses_dynamic_stack: false
    .vgpr_count:     190
    .vgpr_spill_count: 0
    .wavefront_size: 32
    .workgroup_processor_mode: 1
amdhsa.target:   amdgcn-amd-amdhsa--gfx1201
amdhsa.version:
  - 1
  - 2
...

	.end_amdgpu_metadata
